;; amdgpu-corpus repo=zjin-lcf/HeCBench kind=compiled arch=gfx942 opt=O3
	.text
	.amdgcn_target "amdgcn-amd-amdhsa--gfx942"
	.amdhsa_code_object_version 6
	.protected	_Z11setupKernelPj       ; -- Begin function _Z11setupKernelPj
	.globl	_Z11setupKernelPj
	.p2align	8
	.type	_Z11setupKernelPj,@function
_Z11setupKernelPj:                      ; @_Z11setupKernelPj
; %bb.0:
	s_load_dword s3, s[0:1], 0x14
	s_load_dwordx2 s[4:5], s[0:1], 0x0
	s_waitcnt lgkmcnt(0)
	s_and_b32 s0, s3, 0xffff
	s_mul_i32 s2, s2, s0
	v_add_u32_e32 v0, s2, v0
	v_ashrrev_i32_e32 v1, 31, v0
	v_lshl_add_u64 v[2:3], v[0:1], 2, s[4:5]
	v_cmp_lt_i32_e32 vcc, 0, v0
	global_store_dword v[2:3], v0, off
	s_and_saveexec_b64 s[0:1], vcc
	s_cbranch_execz .LBB0_4
; %bb.1:
	s_mov_b64 s[0:1], 0
	s_mov_b32 s2, 0x1984a2d
	v_mov_b32_e32 v1, v0
.LBB0_2:                                ; =>This Inner Loop Header: Depth=1
	v_add_u32_e32 v0, -1, v0
	v_mad_u64_u32 v[4:5], s[4:5], v1, s2, 1
	v_cmp_eq_u32_e32 vcc, 0, v0
	s_or_b64 s[0:1], vcc, s[0:1]
	v_and_b32_e32 v1, 0x7fffffff, v4
	s_andn2_b64 exec, exec, s[0:1]
	s_cbranch_execnz .LBB0_2
; %bb.3:
	s_or_b64 exec, exec, s[0:1]
	global_store_dword v[2:3], v1, off
.LBB0_4:
	s_endpgm
	.section	.rodata,"a",@progbits
	.p2align	6, 0x0
	.amdhsa_kernel _Z11setupKernelPj
		.amdhsa_group_segment_fixed_size 0
		.amdhsa_private_segment_fixed_size 0
		.amdhsa_kernarg_size 264
		.amdhsa_user_sgpr_count 2
		.amdhsa_user_sgpr_dispatch_ptr 0
		.amdhsa_user_sgpr_queue_ptr 0
		.amdhsa_user_sgpr_kernarg_segment_ptr 1
		.amdhsa_user_sgpr_dispatch_id 0
		.amdhsa_user_sgpr_kernarg_preload_length 0
		.amdhsa_user_sgpr_kernarg_preload_offset 0
		.amdhsa_user_sgpr_private_segment_size 0
		.amdhsa_uses_dynamic_stack 0
		.amdhsa_enable_private_segment 0
		.amdhsa_system_sgpr_workgroup_id_x 1
		.amdhsa_system_sgpr_workgroup_id_y 0
		.amdhsa_system_sgpr_workgroup_id_z 0
		.amdhsa_system_sgpr_workgroup_info 0
		.amdhsa_system_vgpr_workitem_id 0
		.amdhsa_next_free_vgpr 6
		.amdhsa_next_free_sgpr 6
		.amdhsa_accum_offset 8
		.amdhsa_reserve_vcc 1
		.amdhsa_float_round_mode_32 0
		.amdhsa_float_round_mode_16_64 0
		.amdhsa_float_denorm_mode_32 3
		.amdhsa_float_denorm_mode_16_64 3
		.amdhsa_dx10_clamp 1
		.amdhsa_ieee_mode 1
		.amdhsa_fp16_overflow 0
		.amdhsa_tg_split 0
		.amdhsa_exception_fp_ieee_invalid_op 0
		.amdhsa_exception_fp_denorm_src 0
		.amdhsa_exception_fp_ieee_div_zero 0
		.amdhsa_exception_fp_ieee_overflow 0
		.amdhsa_exception_fp_ieee_underflow 0
		.amdhsa_exception_fp_ieee_inexact 0
		.amdhsa_exception_int_div_zero 0
	.end_amdhsa_kernel
	.text
.Lfunc_end0:
	.size	_Z11setupKernelPj, .Lfunc_end0-_Z11setupKernelPj
                                        ; -- End function
	.section	.AMDGPU.csdata,"",@progbits
; Kernel info:
; codeLenInByte = 136
; NumSgprs: 12
; NumVgprs: 6
; NumAgprs: 0
; TotalNumVgprs: 6
; ScratchSize: 0
; MemoryBound: 0
; FloatMode: 240
; IeeeMode: 1
; LDSByteSize: 0 bytes/workgroup (compile time only)
; SGPRBlocks: 1
; VGPRBlocks: 0
; NumSGPRsForWavesPerEU: 12
; NumVGPRsForWavesPerEU: 6
; AccumOffset: 8
; Occupancy: 8
; WaveLimiterHint : 0
; COMPUTE_PGM_RSRC2:SCRATCH_EN: 0
; COMPUTE_PGM_RSRC2:USER_SGPR: 2
; COMPUTE_PGM_RSRC2:TRAP_HANDLER: 0
; COMPUTE_PGM_RSRC2:TGID_X_EN: 1
; COMPUTE_PGM_RSRC2:TGID_Y_EN: 0
; COMPUTE_PGM_RSRC2:TGID_Z_EN: 0
; COMPUTE_PGM_RSRC2:TIDIG_COMP_CNT: 0
; COMPUTE_PGM_RSRC3_GFX90A:ACCUM_OFFSET: 1
; COMPUTE_PGM_RSRC3_GFX90A:TG_SPLIT: 0
	.text
	.protected	_Z6decodePKfPKiPKjPi    ; -- Begin function _Z6decodePKfPKiPKjPi
	.globl	_Z6decodePKfPKiPKjPi
	.p2align	8
	.type	_Z6decodePKfPKiPKjPi,@function
_Z6decodePKfPKiPKjPi:                   ; @_Z6decodePKfPKiPKjPi
; %bb.0:
	s_load_dword s3, s[0:1], 0x2c
	s_load_dwordx2 s[4:5], s[0:1], 0x10
	v_cmp_eq_u32_e32 vcc, 0, v0
	s_waitcnt lgkmcnt(0)
	s_and_b32 s3, s3, 0xffff
	s_mul_i32 s2, s2, s3
	v_add_u32_e32 v70, s2, v0
	v_ashrrev_i32_e32 v71, 31, v70
	v_lshl_add_u64 v[2:3], v[70:71], 2, s[4:5]
	global_load_dword v4, v[2:3], off
	s_movk_i32 s2, 0xde0
	s_add_i32 s28, s2, 0x630
	s_and_saveexec_b64 s[2:3], vcc
	s_cbranch_execz .LBB1_2
; %bb.1:
	s_load_dwordx2 s[20:21], s[0:1], 0x0
	v_mov_b32_e32 v0, 0
	s_waitcnt lgkmcnt(0)
	s_load_dwordx16 s[4:19], s[20:21], 0x0
	s_waitcnt lgkmcnt(0)
	v_mov_b32_e32 v6, s4
	v_mov_b32_e32 v7, s5
	;; [unrolled: 1-line block ×8, first 2 shown]
	ds_write_b128 v0, v[6:9]
	ds_write_b128 v0, v[10:13] offset:16
	s_load_dwordx16 s[36:51], s[20:21], 0x40
	v_mov_b32_e32 v6, s12
	v_mov_b32_e32 v7, s13
	v_mov_b32_e32 v8, s14
	v_mov_b32_e32 v9, s15
	ds_write_b128 v0, v[6:9] offset:32
	v_mov_b32_e32 v6, s16
	v_mov_b32_e32 v7, s17
	v_mov_b32_e32 v8, s18
	v_mov_b32_e32 v9, s19
	s_load_dwordx16 s[4:19], s[20:21], 0x80
	ds_write_b128 v0, v[6:9] offset:48
	s_waitcnt lgkmcnt(0)
	v_mov_b32_e32 v6, s36
	v_mov_b32_e32 v7, s37
	v_mov_b32_e32 v8, s38
	v_mov_b32_e32 v9, s39
	ds_write_b128 v0, v[6:9] offset:64
	v_mov_b32_e32 v6, s40
	v_mov_b32_e32 v7, s41
	v_mov_b32_e32 v8, s42
	v_mov_b32_e32 v9, s43
	ds_write_b128 v0, v[6:9] offset:80
	v_mov_b32_e32 v6, s44
	v_mov_b32_e32 v7, s45
	v_mov_b32_e32 v8, s46
	v_mov_b32_e32 v9, s47
	ds_write_b128 v0, v[6:9] offset:96
	v_mov_b32_e32 v6, s48
	v_mov_b32_e32 v7, s49
	v_mov_b32_e32 v8, s50
	v_mov_b32_e32 v9, s51
	s_load_dwordx16 s[36:51], s[20:21], 0xc0
	ds_write_b128 v0, v[6:9] offset:112
	v_mov_b32_e32 v6, s4
	v_mov_b32_e32 v7, s5
	v_mov_b32_e32 v8, s6
	v_mov_b32_e32 v9, s7
	ds_write_b128 v0, v[6:9] offset:128
	v_mov_b32_e32 v6, s8
	v_mov_b32_e32 v7, s9
	v_mov_b32_e32 v8, s10
	v_mov_b32_e32 v9, s11
	ds_write_b128 v0, v[6:9] offset:144
	v_mov_b32_e32 v6, s12
	v_mov_b32_e32 v7, s13
	v_mov_b32_e32 v8, s14
	v_mov_b32_e32 v9, s15
	ds_write_b128 v0, v[6:9] offset:160
	v_mov_b32_e32 v6, s16
	v_mov_b32_e32 v7, s17
	v_mov_b32_e32 v8, s18
	v_mov_b32_e32 v9, s19
	s_load_dwordx16 s[4:19], s[20:21], 0x100
	ds_write_b128 v0, v[6:9] offset:176
	s_waitcnt lgkmcnt(0)
	v_mov_b32_e32 v6, s36
	v_mov_b32_e32 v7, s37
	v_mov_b32_e32 v8, s38
	v_mov_b32_e32 v9, s39
	ds_write_b128 v0, v[6:9] offset:192
	v_mov_b32_e32 v6, s40
	v_mov_b32_e32 v7, s41
	v_mov_b32_e32 v8, s42
	v_mov_b32_e32 v9, s43
	ds_write_b128 v0, v[6:9] offset:208
	v_mov_b32_e32 v6, s44
	v_mov_b32_e32 v7, s45
	v_mov_b32_e32 v8, s46
	v_mov_b32_e32 v9, s47
	ds_write_b128 v0, v[6:9] offset:224
	v_mov_b32_e32 v6, s48
	v_mov_b32_e32 v7, s49
	v_mov_b32_e32 v8, s50
	v_mov_b32_e32 v9, s51
	s_load_dwordx16 s[36:51], s[20:21], 0x140
	ds_write_b128 v0, v[6:9] offset:240
	v_mov_b32_e32 v6, s4
	v_mov_b32_e32 v7, s5
	v_mov_b32_e32 v8, s6
	v_mov_b32_e32 v9, s7
	ds_write_b128 v0, v[6:9] offset:256
	v_mov_b32_e32 v6, s8
	v_mov_b32_e32 v7, s9
	v_mov_b32_e32 v8, s10
	v_mov_b32_e32 v9, s11
	ds_write_b128 v0, v[6:9] offset:272
	;; [unrolled: 43-line block ×20, first 2 shown]
	v_mov_b32_e32 v6, s12
	v_mov_b32_e32 v7, s13
	;; [unrolled: 1-line block ×4, first 2 shown]
	ds_write_b128 v0, v[6:9] offset:2592
	v_mov_b32_e32 v6, s16
	v_mov_b32_e32 v7, s17
	;; [unrolled: 1-line block ×4, first 2 shown]
	s_load_dwordx4 s[4:7], s[20:21], 0xa80
	ds_write_b128 v0, v[6:9] offset:2608
	s_waitcnt lgkmcnt(0)
	v_mov_b32_e32 v6, s36
	v_mov_b32_e32 v7, s37
	v_mov_b32_e32 v8, s38
	v_mov_b32_e32 v9, s39
	ds_write_b128 v0, v[6:9] offset:2624
	v_mov_b32_e32 v6, s40
	v_mov_b32_e32 v7, s41
	v_mov_b32_e32 v8, s42
	v_mov_b32_e32 v9, s43
	ds_write_b128 v0, v[6:9] offset:2640
	;; [unrolled: 5-line block ×4, first 2 shown]
	v_mov_b64_e32 v[8:9], s[6:7]
	v_mov_b64_e32 v[6:7], s[4:5]
	ds_write_b128 v0, v[6:9] offset:2688
.LBB1_2:
	s_or_b64 exec, exec, s[2:3]
	v_mov_b32_e32 v0, 0
	v_mov_b32_e32 v1, 1
	;; [unrolled: 1-line block ×4, first 2 shown]
	s_mov_b32 s4, 0x1984a2d
	s_waitcnt lgkmcnt(0)
	s_barrier
	scratch_store_dwordx4 off, v[0:3], off offset:1824
	v_mov_b32_e32 v6, 4
	v_mov_b32_e32 v7, 5
	s_waitcnt vmcnt(1)
	v_mad_u64_u32 v[2:3], s[2:3], v4, s4, 1
	v_and_b32_e32 v1, 0x7fffffff, v2
	v_cvt_f32_u32_e32 v1, v1
	v_mov_b32_e32 v8, 6
	v_mov_b32_e32 v9, 7
	scratch_store_dwordx4 off, v[6:9], off offset:1840
	v_mul_f32_e32 v1, 0x30000000, v1
	v_mul_f32_e32 v1, 0x41f00000, v1
	v_mov_b32_e32 v6, 8
	v_mov_b32_e32 v7, 9
	;; [unrolled: 1-line block ×4, first 2 shown]
	v_cvt_i32_f32_e32 v1, v1
	scratch_store_dwordx4 off, v[6:9], off offset:1856
	v_mov_b32_e32 v4, 28
	v_mov_b32_e32 v5, 29
	;; [unrolled: 1-line block ×6, first 2 shown]
	scratch_store_dwordx4 off, v[6:9], off offset:1872
	v_cmp_ne_u32_e32 vcc, 0, v1
	scratch_store_dwordx2 off, v[4:5], off offset:1936
	v_mov_b32_e32 v6, 16
	v_mov_b32_e32 v7, 17
	;; [unrolled: 1-line block ×4, first 2 shown]
	scratch_store_dwordx4 off, v[6:9], off offset:1888
	s_nop 1
	v_mov_b32_e32 v6, 20
	v_mov_b32_e32 v7, 21
	;; [unrolled: 1-line block ×4, first 2 shown]
	scratch_store_dwordx4 off, v[6:9], off offset:1904
	s_nop 1
	v_mov_b32_e32 v6, 24
	v_mov_b32_e32 v7, 25
	;; [unrolled: 1-line block ×4, first 2 shown]
	scratch_store_dwordx4 off, v[6:9], off offset:1920
	s_and_saveexec_b64 s[2:3], vcc
	s_cbranch_execz .LBB1_4
; %bb.3:
	v_mov_b32_e32 v3, 0x720
	v_lshl_add_u32 v1, v1, 2, v3
	scratch_load_dword v3, v1, off
	s_nop 0
	scratch_store_dword v1, v0, off
	s_waitcnt vmcnt(1)
	scratch_store_dword off, v3, off offset:1824
.LBB1_4:
	s_or_b64 exec, exec, s[2:3]
	v_mad_u64_u32 v[0:1], s[2:3], v2, s4, 1
	v_and_b32_e32 v1, 0x7fffffff, v0
	v_cvt_f32_u32_e32 v1, v1
	v_mul_f32_e32 v1, 0x30000000, v1
	v_mul_f32_e32 v1, 0x41f00000, v1
	v_cvt_i32_f32_e32 v1, v1
	v_cmp_ne_u32_e32 vcc, 1, v1
	s_and_saveexec_b64 s[2:3], vcc
	s_cbranch_execz .LBB1_6
; %bb.5:
	v_mov_b32_e32 v2, 0x720
	v_lshl_add_u32 v1, v1, 2, v2
	scratch_load_dword v2, v1, off
	scratch_load_dword v3, off, off offset:1828
	s_waitcnt vmcnt(0)
	v_sub_u32_e32 v2, v3, v2
	scratch_store_dword off, v2, off offset:1828
	scratch_load_dword v3, v1, off
	s_waitcnt vmcnt(0)
	v_add_u32_e32 v2, v3, v2
	scratch_store_dword v1, v2, off
	scratch_load_dword v1, off, off offset:1828
	s_waitcnt vmcnt(0)
	v_sub_u32_e32 v1, v2, v1
	scratch_store_dword off, v1, off offset:1828
.LBB1_6:
	s_or_b64 exec, exec, s[2:3]
	v_mad_u64_u32 v[0:1], s[2:3], v0, s4, 1
	v_and_b32_e32 v1, 0x7fffffff, v0
	v_cvt_f32_u32_e32 v1, v1
	v_mul_f32_e32 v1, 0x30000000, v1
	v_mul_f32_e32 v1, 0x41f00000, v1
	v_cvt_i32_f32_e32 v1, v1
	v_cmp_ne_u32_e32 vcc, 2, v1
	s_and_saveexec_b64 s[2:3], vcc
	s_cbranch_execz .LBB1_8
; %bb.7:
	v_mov_b32_e32 v2, 0x720
	v_lshl_add_u32 v1, v1, 2, v2
	scratch_load_dword v2, v1, off
	scratch_load_dword v3, off, off offset:1832
	s_waitcnt vmcnt(0)
	v_sub_u32_e32 v2, v3, v2
	scratch_store_dword off, v2, off offset:1832
	scratch_load_dword v3, v1, off
	s_waitcnt vmcnt(0)
	v_add_u32_e32 v2, v3, v2
	scratch_store_dword v1, v2, off
	scratch_load_dword v1, off, off offset:1832
	s_waitcnt vmcnt(0)
	v_sub_u32_e32 v1, v2, v1
	scratch_store_dword off, v1, off offset:1832
.LBB1_8:
	;; [unrolled: 27-line block ×27, first 2 shown]
	s_or_b64 exec, exec, s[2:3]
	s_mov_b32 s6, 0x1984a2d
	v_mad_u64_u32 v[0:1], s[2:3], v0, s6, 1
	v_and_b32_e32 v1, 0x7fffffff, v0
	v_cvt_f32_u32_e32 v1, v1
	s_load_dwordx2 s[2:3], s[0:1], 0x8
	v_mul_f32_e32 v1, 0x30000000, v1
	v_mul_f32_e32 v1, 0x41f00000, v1
	v_cvt_i32_f32_e32 v1, v1
	v_cmp_ne_u32_e32 vcc, 28, v1
	s_and_saveexec_b64 s[4:5], vcc
	s_cbranch_execz .LBB1_60
; %bb.59:
	v_mov_b32_e32 v2, 0x720
	v_lshl_add_u32 v1, v1, 2, v2
	scratch_load_dword v2, v1, off
	scratch_load_dword v3, off, off offset:1936
	s_waitcnt vmcnt(0)
	v_sub_u32_e32 v2, v3, v2
	scratch_store_dword off, v2, off offset:1936
	scratch_load_dword v3, v1, off
	s_waitcnt vmcnt(0)
	v_add_u32_e32 v2, v3, v2
	scratch_store_dword v1, v2, off
	scratch_load_dword v1, off, off offset:1936
	s_waitcnt vmcnt(0)
	v_sub_u32_e32 v1, v2, v1
	scratch_store_dword off, v1, off offset:1936
.LBB1_60:
	s_or_b64 exec, exec, s[4:5]
	scratch_load_dword v58, off, off offset:1940
	v_mad_u64_u32 v[0:1], s[4:5], v0, s6, 1
	v_and_b32_e32 v81, 0x7fffffff, v0
	v_cvt_f32_u32_e32 v0, v81
	s_load_dwordx2 s[8:9], s[0:1], 0x18
	v_mul_f32_e32 v0, 0x30000000, v0
	v_mul_f32_e32 v0, 0x41f00000, v0
	v_cvt_i32_f32_e32 v0, v0
	v_cmp_ne_u32_e32 vcc, 29, v0
	s_and_saveexec_b64 s[0:1], vcc
	s_cbranch_execz .LBB1_62
; %bb.61:
	v_mov_b32_e32 v1, 0x720
	v_lshl_add_u32 v0, v0, 2, v1
	scratch_load_dword v1, v0, off
	s_waitcnt vmcnt(0)
	v_sub_u32_e32 v1, v58, v1
	scratch_store_dword off, v1, off offset:1940
	scratch_load_dword v2, v0, off
	s_waitcnt vmcnt(0)
	v_add_u32_e32 v1, v2, v1
	scratch_store_dword v0, v1, off
	scratch_load_dword v0, off, off offset:1940
	s_waitcnt vmcnt(0)
	v_sub_u32_e32 v58, v1, v0
	scratch_store_dword off, v58, off offset:1940
.LBB1_62:
	s_or_b64 exec, exec, s[0:1]
	scratch_load_dwordx3 v[60:62], off, off offset:1824
	scratch_load_dwordx4 v[4:7], off, off offset:1836
	scratch_load_dwordx4 v[8:11], off, off offset:1852
	;; [unrolled: 1-line block ×6, first 2 shown]
	scratch_load_dwordx2 v[56:57], off, off offset:1932
	v_mov_b32_e32 v59, 16
	s_waitcnt lgkmcnt(0)
	s_add_u32 s10, s2, 8
	s_mov_b32 s4, 13
	s_mov_b32 s13, 0
	v_mov_b32_e32 v82, 0x497423f0
	s_mov_b32 s15, 0x1984a2d
	s_brev_b32 s12, 12
	s_movk_i32 s29, 0x45
	s_mov_b32 s30, 0x41e00000
	s_mov_b32 s31, 0x84ee0be9
	;; [unrolled: 1-line block ×4, first 2 shown]
	v_mov_b32_e32 v73, 0
	v_mov_b32_e32 v65, 0x1420
	;; [unrolled: 1-line block ×3, first 2 shown]
	s_mov_b32 s14, 0x41f00000
	s_mov_b32 s35, 0x8889
	v_mov_b32_e32 v71, 0x7a0
	v_mov_b32_e32 v77, 0xde0
	;; [unrolled: 1-line block ×4, first 2 shown]
	v_add_u32_e32 v76, 52, v59
	s_addc_u32 s11, s3, 0
	s_mov_b32 s5, s4
	s_mov_b32 s6, s4
	;; [unrolled: 1-line block ×3, first 2 shown]
	v_mov_b32_e32 v80, 2
	s_waitcnt vmcnt(7)
	v_mov_b32_e32 v78, v61
	v_mov_b32_e32 v79, v62
	s_branch .LBB1_64
.LBB1_63:                               ;   in Loop: Header=BB1_64 Depth=1
	s_or_b64 exec, exec, s[0:1]
	s_add_i32 s13, s13, 1
	s_cmp_eq_u32 s13, 0x249f0
	s_cbranch_scc1 .LBB1_121
.LBB1_64:                               ; =>This Loop Header: Depth=1
                                        ;     Child Loop BB1_71 Depth 2
                                        ;     Child Loop BB1_75 Depth 2
	;; [unrolled: 1-line block ×3, first 2 shown]
                                        ;       Child Loop BB1_86 Depth 3
                                        ;     Child Loop BB1_95 Depth 2
                                        ;     Child Loop BB1_101 Depth 2
                                        ;       Child Loop BB1_106 Depth 3
                                        ;       Child Loop BB1_110 Depth 3
                                        ;     Child Loop BB1_112 Depth 2
                                        ;     Child Loop BB1_114 Depth 2
	;; [unrolled: 1-line block ×3, first 2 shown]
	v_mad_u64_u32 v[2:3], s[0:1], v81, s15, 1
	v_and_b32_e32 v1, 0x7fffffff, v2
	v_cvt_f32_u32_e32 v3, v1
                                        ; implicit-def: $vgpr81
	v_mul_f32_e32 v3, 0x30000000, v3
	v_mul_f32_e32 v3, 0x42c80000, v3
	v_cvt_i32_f32_e32 v3, v3
	v_cmp_lt_i32_e32 vcc, 49, v3
	s_and_saveexec_b64 s[0:1], vcc
	s_xor_b64 s[16:17], exec, s[0:1]
	s_cbranch_execz .LBB1_91
; %bb.65:                               ;   in Loop: Header=BB1_64 Depth=1
	v_cmp_lt_u32_e32 vcc, s29, v3
                                        ; implicit-def: $vgpr81
	s_and_saveexec_b64 s[0:1], vcc
	s_xor_b64 s[18:19], exec, s[0:1]
	s_cbranch_execz .LBB1_79
; %bb.66:                               ;   in Loop: Header=BB1_64 Depth=1
	v_mul_lo_u32 v1, v2, s31
	v_add_u32_e32 v1, 0x1984a2e, v1
	v_and_b32_e32 v1, 0x7fffffff, v1
	v_cvt_f32_u32_e32 v1, v1
	v_mad_u64_u32 v[28:29], s[0:1], v2, s15, 1
	v_mul_lo_u32 v3, v2, s33
	v_mul_f32_e32 v1, 0x30000000, v1
	v_mul_f32_e32 v1, 0x41e80000, v1
	v_cvt_i32_f32_e32 v2, v1
	v_add_u32_e32 v3, 0x86865617, v3
	v_and_b32_e32 v81, 0x7fffffff, v3
	v_and_b32_e32 v1, 0x7fffffff, v28
	v_add_u32_e32 v28, 1, v2
	v_cvt_f32_u32_e32 v3, v81
	v_cvt_f32_i32_e32 v28, v28
	v_cvt_f32_u32_e32 v1, v1
	v_mov_b32_e32 v61, v78
	v_mul_f32_e32 v3, 0x30000000, v3
	v_fmac_f32_e32 v28, 0x41e00000, v3
	v_cvt_i32_f32_e32 v3, v28
	v_mul_f32_e32 v1, 0x30000000, v1
	v_fma_f32 v1, v1, s30, 1.0
	v_cvt_i32_f32_e32 v1, v1
	v_mul_hi_i32 v28, v3, s34
	v_add_u32_e32 v28, v28, v3
	v_lshrrev_b32_e32 v29, 31, v28
	v_ashrrev_i32_e32 v28, 4, v28
	v_add_u32_e32 v28, v28, v29
	v_mul_lo_u32 v28, v28, 30
	v_sub_u32_e32 v3, v3, v28
	v_sub_u32_e32 v3, v3, v2
	v_add_u32_e32 v3, 30, v3
	v_mul_hi_i32 v28, v3, s34
	v_add_u32_e32 v28, v28, v3
	v_lshrrev_b32_e32 v29, 31, v28
	v_ashrrev_i32_e32 v28, 4, v28
	v_add_u32_e32 v28, v28, v29
	v_mul_lo_u32 v28, v28, 30
	v_sub_u32_e32 v30, v3, v28
	v_add_u32_e32 v1, v30, v1
	v_mul_hi_i32 v3, v1, s34
	v_add_u32_e32 v3, v3, v1
	v_lshrrev_b32_e32 v28, 31, v3
	v_ashrrev_i32_e32 v3, 4, v3
	v_add_u32_e32 v3, v3, v28
	v_mul_lo_u32 v3, v3, 30
	v_sub_u32_e32 v32, v1, v3
	v_mov_b32_e32 v62, v79
	v_cmp_lt_i32_e32 vcc, 0, v32
	scratch_store_dwordx3 off, v[60:62], s28 offset:16
	s_waitcnt vmcnt(7)
	scratch_store_dwordx4 off, v[4:7], s28 offset:28
	s_waitcnt vmcnt(7)
	scratch_store_dwordx4 off, v[8:11], s28 offset:44
	;; [unrolled: 2-line block ×6, first 2 shown]
	s_waitcnt vmcnt(7)
	scratch_store_dwordx3 off, v[56:58], s28 offset:124
	s_and_saveexec_b64 s[20:21], vcc
	s_cbranch_execz .LBB1_78
; %bb.67:                               ;   in Loop: Header=BB1_64 Depth=1
	v_cmp_ne_u32_e32 vcc, 1, v32
	s_mov_b64 s[24:25], 0
	v_sub_u32_e32 v1, 0, v32
                                        ; implicit-def: $vgpr33
                                        ; implicit-def: $vgpr31
	s_and_saveexec_b64 s[0:1], vcc
	s_xor_b64 s[22:23], exec, s[0:1]
                                        ; implicit-def: $vgpr28_vgpr29
	s_cbranch_execnz .LBB1_70
; %bb.68:                               ;   in Loop: Header=BB1_64 Depth=1
	s_andn2_saveexec_b64 s[0:1], s[22:23]
	s_cbranch_execnz .LBB1_73
.LBB1_69:                               ;   in Loop: Header=BB1_64 Depth=1
	s_or_b64 exec, exec, s[0:1]
	s_and_saveexec_b64 s[0:1], s[24:25]
	s_cbranch_execnz .LBB1_74
	s_branch .LBB1_77
.LBB1_70:                               ;   in Loop: Header=BB1_64 Depth=1
	v_max_i32_e32 v31, v32, v1
	v_cvt_f32_u32_e32 v1, v31
	v_sub_u32_e32 v29, 0, v31
	v_and_b32_e32 v33, 0x7ffffffe, v32
	v_mov_b32_e32 v3, v30
	v_rcp_iflag_f32_e32 v28, v1
	v_mov_b32_e32 v1, v2
	s_mov_b32 s26, 0
	s_mov_b32 s27, 1
	v_mul_f32_e32 v28, 0x4f7ffffe, v28
	v_cvt_u32_f32_e32 v28, v28
	v_mul_lo_u32 v29, v29, v28
	v_mul_hi_u32 v29, v28, v29
	v_add_u32_e32 v28, v28, v29
	v_mov_b32_e32 v29, v33
.LBB1_71:                               ;   Parent Loop BB1_64 Depth=1
                                        ; =>  This Inner Loop Header: Depth=2
	v_add_u32_e32 v35, s26, v2
	v_add_u32_e32 v34, s27, v1
	v_mul_hi_i32 v36, v35, s34
	v_mul_hi_i32 v37, v34, s34
	v_add_u32_e32 v36, v36, v35
	v_add_u32_e32 v37, v37, v34
	v_lshrrev_b32_e32 v38, 31, v36
	v_ashrrev_i32_e32 v36, 4, v36
	v_lshrrev_b32_e32 v39, 31, v37
	v_ashrrev_i32_e32 v37, 4, v37
	v_add_u32_e32 v36, v36, v38
	v_add_u32_e32 v37, v37, v39
	v_mul_lo_u32 v36, v36, 30
	v_mul_lo_u32 v37, v37, 30
	v_sub_u32_e32 v35, v35, v36
	v_sub_u32_e32 v34, v34, v37
	v_lshl_add_u32 v35, v35, 2, v65
	v_lshl_add_u32 v34, v34, 2, v65
	scratch_load_dword v36, v35, off
	scratch_load_dword v37, v34, off
	v_add_u32_e32 v35, s26, v30
	v_add_u32_e32 v34, s27, v3
	v_sub_u32_e32 v39, 0, v35
	v_ashrrev_i32_e32 v38, 31, v35
	v_sub_u32_e32 v41, 0, v34
	v_max_i32_e32 v35, v35, v39
	v_ashrrev_i32_e32 v40, 31, v34
	v_max_i32_e32 v34, v34, v41
	v_mul_hi_u32 v39, v35, v28
	v_mul_hi_u32 v41, v34, v28
	v_mul_lo_u32 v39, v39, v31
	v_add_u32_e32 v29, -2, v29
	v_mul_lo_u32 v41, v41, v31
	v_sub_u32_e32 v35, v35, v39
	s_add_i32 s26, s26, 2
	s_add_i32 s27, s27, 2
	v_cmp_eq_u32_e32 vcc, 0, v29
	v_sub_u32_e32 v34, v34, v41
	v_sub_u32_e32 v39, v35, v31
	v_cmp_ge_u32_e64 s[0:1], v35, v31
	s_or_b64 s[24:25], vcc, s[24:25]
	v_sub_u32_e32 v41, v34, v31
	v_cmp_ge_u32_e32 vcc, v34, v31
	v_cndmask_b32_e64 v35, v35, v39, s[0:1]
	v_sub_u32_e32 v39, v35, v31
	v_cndmask_b32_e32 v34, v34, v41, vcc
	v_cmp_ge_u32_e64 s[0:1], v35, v31
	v_sub_u32_e32 v41, v34, v31
	v_cmp_ge_u32_e32 vcc, v34, v31
	v_cndmask_b32_e64 v35, v35, v39, s[0:1]
	v_xor_b32_e32 v35, v35, v38
	v_cndmask_b32_e32 v34, v34, v41, vcc
	v_xor_b32_e32 v34, v34, v40
	v_sub_u32_e32 v35, v35, v38
	v_sub_u32_e32 v34, v34, v40
	v_add_u32_e32 v35, v35, v2
	v_add_u32_e32 v34, v34, v1
	v_mul_hi_i32 v38, v35, s34
	v_mul_hi_i32 v39, v34, s34
	v_add_u32_e32 v38, v38, v35
	v_add_u32_e32 v39, v39, v34
	v_lshrrev_b32_e32 v40, 31, v38
	v_ashrrev_i32_e32 v38, 4, v38
	v_lshrrev_b32_e32 v41, 31, v39
	v_ashrrev_i32_e32 v39, 4, v39
	v_add_u32_e32 v38, v38, v40
	v_add_u32_e32 v39, v39, v41
	v_mul_lo_u32 v38, v38, 30
	v_mul_lo_u32 v39, v39, 30
	v_sub_u32_e32 v35, v35, v38
	v_sub_u32_e32 v34, v34, v39
	v_lshl_add_u32 v35, v35, 2, v69
	v_lshl_add_u32 v34, v34, 2, v69
	s_waitcnt vmcnt(1)
	scratch_store_dword v35, v36, off
	s_waitcnt vmcnt(1)
	scratch_store_dword v34, v37, off
	s_andn2_b64 exec, exec, s[24:25]
	s_cbranch_execnz .LBB1_71
; %bb.72:                               ;   in Loop: Header=BB1_64 Depth=1
	s_or_b64 exec, exec, s[24:25]
	v_cmp_ne_u32_e32 vcc, v32, v33
	s_and_b64 s[24:25], vcc, exec
                                        ; implicit-def: $vgpr1
	s_andn2_saveexec_b64 s[0:1], s[22:23]
	s_cbranch_execz .LBB1_69
.LBB1_73:                               ;   in Loop: Header=BB1_64 Depth=1
	v_max_i32_e32 v31, v32, v1
	v_cvt_f32_u32_e32 v1, v31
	v_sub_u32_e32 v3, 0, v31
	v_mov_b32_e32 v33, 0
	s_or_b64 s[24:25], s[24:25], exec
	v_rcp_iflag_f32_e32 v1, v1
	s_nop 0
	v_mul_f32_e32 v1, 0x4f7ffffe, v1
	v_cvt_u32_f32_e32 v1, v1
	v_mul_lo_u32 v3, v3, v1
	v_mul_hi_u32 v3, v1, v3
	v_add_u32_e32 v28, v1, v3
	s_or_b64 exec, exec, s[0:1]
	s_and_saveexec_b64 s[0:1], s[24:25]
	s_cbranch_execz .LBB1_77
.LBB1_74:                               ;   in Loop: Header=BB1_64 Depth=1
	v_sub_u32_e32 v1, v32, v33
	v_add_u32_e32 v3, v33, v30
	v_add_u32_e32 v29, v33, v2
	s_mov_b64 s[22:23], 0
.LBB1_75:                               ;   Parent Loop BB1_64 Depth=1
                                        ; =>  This Inner Loop Header: Depth=2
	v_mul_hi_i32 v30, v29, s34
	v_add_u32_e32 v30, v30, v29
	v_lshrrev_b32_e32 v32, 31, v30
	v_ashrrev_i32_e32 v30, 4, v30
	v_add_u32_e32 v30, v30, v32
	v_mul_lo_u32 v30, v30, 30
	v_sub_u32_e32 v30, v29, v30
	v_lshl_add_u32 v30, v30, 2, v65
	scratch_load_dword v34, v30, off
	v_sub_u32_e32 v30, 0, v3
	v_max_i32_e32 v36, v3, v30
	v_mul_hi_u32 v30, v36, v28
	v_mad_u64_u32 v[32:33], s[24:25], v36, v73, v[30:31]
	v_add_u32_e32 v1, -1, v1
	v_mul_lo_u32 v30, v32, v31
	v_cmp_eq_u32_e32 vcc, 0, v1
	v_sub_u32_e32 v30, v36, v30
	s_or_b64 s[22:23], vcc, s[22:23]
	v_sub_u32_e32 v32, v30, v31
	v_cmp_ge_u32_e32 vcc, v30, v31
	v_ashrrev_i32_e32 v35, 31, v3
	v_add_u32_e32 v3, 1, v3
	v_cndmask_b32_e32 v30, v30, v32, vcc
	v_sub_u32_e32 v32, v30, v31
	v_cmp_ge_u32_e32 vcc, v30, v31
	v_add_u32_e32 v29, 1, v29
	s_nop 0
	v_cndmask_b32_e32 v30, v30, v32, vcc
	v_xor_b32_e32 v30, v30, v35
	v_sub_u32_e32 v30, v30, v35
	v_add_u32_e32 v30, v30, v2
	v_mul_hi_i32 v32, v30, s34
	v_add_u32_e32 v32, v32, v30
	v_lshrrev_b32_e32 v33, 31, v32
	v_ashrrev_i32_e32 v32, 4, v32
	v_add_u32_e32 v32, v32, v33
	v_mul_lo_u32 v32, v32, 30
	v_sub_u32_e32 v30, v30, v32
	v_lshl_add_u32 v30, v30, 2, v69
	s_waitcnt vmcnt(0)
	scratch_store_dword v30, v34, off
	s_andn2_b64 exec, exec, s[22:23]
	s_cbranch_execnz .LBB1_75
; %bb.76:                               ;   in Loop: Header=BB1_64 Depth=1
	s_or_b64 exec, exec, s[22:23]
.LBB1_77:                               ;   in Loop: Header=BB1_64 Depth=1
	s_or_b64 exec, exec, s[0:1]
.LBB1_78:                               ;   in Loop: Header=BB1_64 Depth=1
	s_or_b64 exec, exec, s[20:21]
                                        ; implicit-def: $vgpr1
.LBB1_79:                               ;   in Loop: Header=BB1_64 Depth=1
	s_andn2_saveexec_b64 s[0:1], s[18:19]
	s_cbranch_execz .LBB1_90
; %bb.80:                               ;   in Loop: Header=BB1_64 Depth=1
	v_mad_u64_u32 v[2:3], s[18:19], v1, s15, 1
	v_and_b32_e32 v81, 0x7fffffff, v2
	v_cvt_f32_u32_e32 v1, v81
	v_mul_f32_e32 v1, 0x30000000, v1
	v_fma_f32 v1, v1, 2.0, 1.0
	v_cmp_lt_f32_e32 vcc, 0, v1
	s_and_saveexec_b64 s[18:19], vcc
	s_cbranch_execz .LBB1_89
; %bb.81:                               ;   in Loop: Header=BB1_64 Depth=1
	s_mov_b32 s36, 0
	s_mov_b64 s[20:21], 0
	s_branch .LBB1_83
.LBB1_82:                               ;   in Loop: Header=BB1_83 Depth=2
	s_or_b64 exec, exec, s[22:23]
	v_mad_u64_u32 v[2:3], s[22:23], v1, s15, 1
	v_and_b32_e32 v81, 0x7fffffff, v2
	v_cvt_f32_u32_e32 v1, v81
	s_add_i32 s36, s36, 1
	v_cvt_f32_u32_e32 v3, s36
	v_mul_f32_e32 v1, 0x30000000, v1
	v_fma_f32 v1, v1, 2.0, 1.0
	v_cmp_ngt_f32_e32 vcc, v1, v3
	s_or_b64 s[20:21], vcc, s[20:21]
	s_andn2_b64 exec, exec, s[20:21]
	s_cbranch_execz .LBB1_88
.LBB1_83:                               ;   Parent Loop BB1_64 Depth=1
                                        ; =>  This Loop Header: Depth=2
                                        ;       Child Loop BB1_86 Depth 3
	v_mul_lo_u32 v1, v2, s31
	v_mad_u64_u32 v[28:29], s[22:23], v2, s15, 1
	v_add_u32_e32 v1, 0x1984a2e, v1
	v_and_b32_e32 v1, 0x7fffffff, v1
	v_and_b32_e32 v3, 0x7fffffff, v28
	v_cvt_f32_u32_e32 v29, v3
	v_cvt_f32_u32_e32 v28, v1
	v_mul_lo_u32 v1, v2, s33
	v_add_u32_e32 v1, 0x86865617, v1
	v_and_b32_e32 v1, 0x7fffffff, v1
	v_pk_mul_f32 v[28:29], v[28:29], s[12:13] op_sel_hi:[1,0]
	v_cvt_f32_u32_e32 v2, v1
	v_pk_mul_f32 v[28:29], v[28:29], s[14:15] op_sel_hi:[1,0]
	v_mul_f32_e32 v2, 0x30000000, v2
	v_cvt_i32_f32_e32 v3, v29
	v_cvt_i32_f32_e32 v28, v28
	v_sub_u32_e32 v29, v3, v28
	v_sub_u32_e32 v30, 0, v29
	v_max_i32_e32 v29, v29, v30
	v_add_u32_e32 v29, -1, v29
	v_cvt_f32_i32_e32 v29, v29
	v_fma_f32 v2, v2, v29, 1.0
	v_cvt_i32_f32_e32 v2, v2
	v_cmp_lt_i32_e32 vcc, 0, v2
	s_and_saveexec_b64 s[22:23], vcc
	s_cbranch_execz .LBB1_82
; %bb.84:                               ;   in Loop: Header=BB1_83 Depth=2
	s_mov_b32 s37, 0
	s_mov_b64 s[24:25], 0
	s_branch .LBB1_86
.LBB1_85:                               ;   in Loop: Header=BB1_86 Depth=3
	s_or_b64 exec, exec, s[26:27]
	s_add_i32 s37, s37, 1
	v_cmp_eq_u32_e32 vcc, s37, v2
	s_or_b64 s[24:25], vcc, s[24:25]
	s_andn2_b64 exec, exec, s[24:25]
	s_cbranch_execz .LBB1_82
.LBB1_86:                               ;   Parent Loop BB1_64 Depth=1
                                        ;     Parent Loop BB1_83 Depth=2
                                        ; =>    This Inner Loop Header: Depth=3
	v_add_u32_e32 v29, s37, v28
	v_mul_hi_i32 v31, v29, s34
	v_add_u32_e32 v31, v31, v29
	v_lshrrev_b32_e32 v32, 31, v31
	v_ashrrev_i32_e32 v31, 4, v31
	v_add_u32_e32 v31, v31, v32
	v_add_u32_e32 v30, s37, v3
	v_mul_lo_u32 v31, v31, 30
	v_sub_u32_e32 v29, v29, v31
	v_mul_hi_i32 v31, v30, s34
	v_add_u32_e32 v31, v31, v30
	v_lshrrev_b32_e32 v32, 31, v31
	v_ashrrev_i32_e32 v31, 4, v31
	v_add_u32_e32 v31, v31, v32
	v_mul_lo_u32 v31, v31, 30
	v_sub_u32_e32 v30, v30, v31
	v_cmp_ne_u32_e32 vcc, v30, v29
	s_and_saveexec_b64 s[26:27], vcc
	s_cbranch_execz .LBB1_85
; %bb.87:                               ;   in Loop: Header=BB1_86 Depth=3
	v_lshl_add_u32 v29, v29, 2, v69
	v_lshl_add_u32 v30, v30, 2, v69
	scratch_load_dword v31, v29, off
	scratch_load_dword v32, v30, off
	s_waitcnt vmcnt(0)
	v_sub_u32_e32 v31, v32, v31
	scratch_store_dword v30, v31, off
	scratch_load_dword v32, v29, off
	s_waitcnt vmcnt(0)
	v_add_u32_e32 v31, v32, v31
	scratch_store_dword v29, v31, off
	scratch_load_dword v29, v30, off
	s_waitcnt vmcnt(0)
	v_sub_u32_e32 v29, v31, v29
	scratch_store_dword v30, v29, off
	s_branch .LBB1_85
.LBB1_88:                               ;   in Loop: Header=BB1_64 Depth=1
	s_or_b64 exec, exec, s[20:21]
.LBB1_89:                               ;   in Loop: Header=BB1_64 Depth=1
	s_or_b64 exec, exec, s[18:19]
.LBB1_90:                               ;   in Loop: Header=BB1_64 Depth=1
	s_or_b64 exec, exec, s[0:1]
                                        ; implicit-def: $vgpr1
.LBB1_91:                               ;   in Loop: Header=BB1_64 Depth=1
	s_andn2_saveexec_b64 s[0:1], s[16:17]
	s_cbranch_execz .LBB1_99
; %bb.92:                               ;   in Loop: Header=BB1_64 Depth=1
	v_mad_u64_u32 v[2:3], s[16:17], v1, s15, 1
	v_and_b32_e32 v81, 0x7fffffff, v2
	v_cvt_f32_u32_e32 v1, v81
	v_mul_f32_e32 v1, 0x30000000, v1
	v_fma_f32 v1, v1, 4.0, 1.0
	v_cmp_lt_f32_e32 vcc, 0, v1
	s_and_saveexec_b64 s[16:17], vcc
	s_cbranch_execz .LBB1_98
; %bb.93:                               ;   in Loop: Header=BB1_64 Depth=1
	s_mov_b32 s22, 1
	s_mov_b64 s[18:19], 0
	s_branch .LBB1_95
.LBB1_94:                               ;   in Loop: Header=BB1_95 Depth=2
	s_or_b64 exec, exec, s[20:21]
	v_mad_u64_u32 v[2:3], s[20:21], v1, s15, 1
	v_and_b32_e32 v81, 0x7fffffff, v2
	v_cvt_f32_u32_e32 v1, v81
	v_cvt_f32_u32_e32 v3, s22
	s_add_i32 s22, s22, 1
	v_mul_f32_e32 v1, 0x30000000, v1
	v_fma_f32 v1, v1, 4.0, 1.0
	v_cmp_ngt_f32_e32 vcc, v1, v3
	s_or_b64 s[18:19], vcc, s[18:19]
	s_andn2_b64 exec, exec, s[18:19]
	s_cbranch_execz .LBB1_97
.LBB1_95:                               ;   Parent Loop BB1_64 Depth=1
                                        ; =>  This Inner Loop Header: Depth=2
	v_mul_lo_u32 v1, v2, s31
	v_mad_u64_u32 v[28:29], s[20:21], v2, s15, 1
	v_add_u32_e32 v1, 0x1984a2e, v1
	v_and_b32_e32 v2, 0x7fffffff, v28
	v_and_b32_e32 v1, 0x7fffffff, v1
	v_cvt_f32_u32_e32 v3, v2
	v_cvt_f32_u32_e32 v2, v1
	v_pk_mul_f32 v[2:3], v[2:3], s[12:13] op_sel_hi:[1,0]
	s_nop 0
	v_pk_mul_f32 v[28:29], v[2:3], s[14:15] op_sel_hi:[1,0]
	s_nop 0
	v_cvt_i32_f32_e32 v3, v28
	v_cvt_i32_f32_e32 v2, v29
	v_cmp_ne_u32_e32 vcc, v2, v3
	s_and_saveexec_b64 s[20:21], vcc
	s_cbranch_execz .LBB1_94
; %bb.96:                               ;   in Loop: Header=BB1_95 Depth=2
	v_lshl_add_u32 v3, v3, 2, v69
	v_lshl_add_u32 v2, v2, 2, v69
	scratch_load_dword v28, v3, off
	scratch_load_dword v29, v2, off
	s_waitcnt vmcnt(0)
	v_sub_u32_e32 v28, v29, v28
	scratch_store_dword v2, v28, off
	scratch_load_dword v29, v3, off
	s_waitcnt vmcnt(0)
	v_add_u32_e32 v28, v29, v28
	scratch_store_dword v3, v28, off
	scratch_load_dword v3, v2, off
	s_waitcnt vmcnt(0)
	v_sub_u32_e32 v3, v28, v3
	scratch_store_dword v2, v3, off
	s_branch .LBB1_94
.LBB1_97:                               ;   in Loop: Header=BB1_64 Depth=1
	s_or_b64 exec, exec, s[18:19]
.LBB1_98:                               ;   in Loop: Header=BB1_64 Depth=1
	s_or_b64 exec, exec, s[16:17]
.LBB1_99:                               ;   in Loop: Header=BB1_64 Depth=1
	s_or_b64 exec, exec, s[0:1]
	scratch_load_dwordx3 v[62:64], off, off offset:1824
	scratch_load_dwordx4 v[28:31], off, off offset:1836
	scratch_load_dwordx4 v[32:35], off, off offset:1852
	;; [unrolled: 1-line block ×6, first 2 shown]
	scratch_load_dwordx3 v[66:68], off, off offset:1932
	v_mov_b32_e32 v1, v0
	v_mov_b32_e32 v2, v0
	;; [unrolled: 1-line block ×3, first 2 shown]
	v_mov_b64_e32 v[54:55], s[6:7]
	v_mov_b64_e32 v[52:53], s[4:5]
	scratch_store_dwordx4 off, v[0:3], off offset:1696
	v_mov_b32_e32 v75, v74
	s_mov_b32 s20, 0
	v_mov_b32_e32 v3, v74
	scratch_store_dwordx4 off, v[52:55], off offset:1728
	scratch_store_dwordx4 off, v[52:55], off offset:1744
	;; [unrolled: 1-line block ×5, first 2 shown]
	scratch_store_dwordx2 off, v[74:75], off offset:1808
	scratch_store_dwordx4 off, v[0:3], off offset:1712
	s_waitcnt vmcnt(15)
	s_nop 0
	v_mov_b32_e32 v2, v63
	v_mov_b32_e32 v3, v64
	s_branch .LBB1_101
.LBB1_100:                              ;   in Loop: Header=BB1_101 Depth=2
	s_or_b64 exec, exec, s[16:17]
	s_add_i32 s20, s20, 1
	s_cmp_lg_u32 s20, 30
	s_cbranch_scc0 .LBB1_111
.LBB1_101:                              ;   Parent Loop BB1_64 Depth=1
                                        ; =>  This Loop Header: Depth=2
                                        ;       Child Loop BB1_106 Depth 3
                                        ;       Child Loop BB1_110 Depth 3
	s_lshl_b32 s0, s20, 2
	s_add_i32 s1, s0, 0x6a0
	scratch_load_dword v1, off, s1
	s_waitcnt vmcnt(0)
	v_cmp_lt_i32_e32 vcc, 0, v1
	s_and_saveexec_b64 s[16:17], vcc
	s_cbranch_execz .LBB1_100
; %bb.102:                              ;   in Loop: Header=BB1_101 Depth=2
	s_addk_i32 s0, 0x720
	scratch_load_dword v61, off, s0
	v_cmp_lt_u32_e32 vcc, 3, v1
	s_mov_b64 s[18:19], 0
	s_waitcnt vmcnt(0)
	v_cmp_lt_i32_e64 s[0:1], v62, v61
	s_nop 1
	v_cndmask_b32_e64 v52, 0, 14, s[0:1]
	v_add_u32_e32 v53, 14, v52
	v_cmp_lt_i32_e64 s[0:1], v63, v61
	v_mul_lo_u32 v75, v61, 56
	s_nop 0
	v_cndmask_b32_e64 v52, v52, v53, s[0:1]
	v_add_u32_e32 v53, 14, v52
	v_cmp_lt_i32_e64 s[0:1], v64, v61
	s_nop 1
	v_cndmask_b32_e64 v52, v52, v53, s[0:1]
	v_add_u32_e32 v53, 14, v52
	v_cmp_lt_i32_e64 s[0:1], v28, v61
	;; [unrolled: 4-line block ×28, first 2 shown]
	s_nop 1
	v_cndmask_b32_e64 v52, v52, v53, s[0:1]
	v_ashrrev_i32_e32 v53, 31, v52
	s_and_saveexec_b64 s[0:1], vcc
	s_xor_b64 s[0:1], exec, s[0:1]
	s_cbranch_execnz .LBB1_105
; %bb.103:                              ;   in Loop: Header=BB1_101 Depth=2
	s_andn2_saveexec_b64 s[0:1], s[0:1]
	s_cbranch_execnz .LBB1_108
.LBB1_104:                              ;   in Loop: Header=BB1_101 Depth=2
	s_or_b64 exec, exec, s[0:1]
	s_and_b64 exec, exec, s[18:19]
	s_cbranch_execz .LBB1_100
	s_branch .LBB1_109
.LBB1_105:                              ;   in Loop: Header=BB1_101 Depth=2
	v_and_b32_e32 v72, 0x7ffffffc, v1
	v_mul_lo_u32 v75, v61, 56
	v_lshl_add_u64 v[54:55], v[52:53], 2, s[10:11]
	v_add_u32_e32 v61, 16, v75
	v_mov_b32_e32 v83, v72
.LBB1_106:                              ;   Parent Loop BB1_64 Depth=1
                                        ;     Parent Loop BB1_101 Depth=2
                                        ; =>    This Inner Loop Header: Depth=3
	global_load_dwordx4 v[84:87], v[54:55], off offset:-8
	v_add_u32_e32 v83, -4, v83
	v_cmp_eq_u32_e32 vcc, 0, v83
	v_lshl_add_u64 v[54:55], v[54:55], 0, 16
	s_or_b64 s[18:19], vcc, s[18:19]
	s_waitcnt vmcnt(0)
	scratch_store_dwordx4 v61, v[84:87], off
	v_add_u32_e32 v61, 16, v61
	s_andn2_b64 exec, exec, s[18:19]
	s_cbranch_execnz .LBB1_106
; %bb.107:                              ;   in Loop: Header=BB1_101 Depth=2
	s_or_b64 exec, exec, s[18:19]
	v_cmp_ne_u32_e32 vcc, v1, v72
	s_and_b64 s[18:19], vcc, exec
	s_andn2_saveexec_b64 s[0:1], s[0:1]
	s_cbranch_execz .LBB1_104
.LBB1_108:                              ;   in Loop: Header=BB1_101 Depth=2
	v_mov_b32_e32 v72, 0
	s_or_b64 s[18:19], s[18:19], exec
	s_or_b64 exec, exec, s[0:1]
	s_and_b64 exec, exec, s[18:19]
	s_cbranch_execz .LBB1_100
.LBB1_109:                              ;   in Loop: Header=BB1_101 Depth=2
	v_lshlrev_b32_e32 v54, 2, v72
	v_lshl_add_u64 v[52:53], v[52:53], 0, v[72:73]
	v_sub_u32_e32 v1, v1, v72
	v_add3_u32 v54, v75, v54, v59
	v_lshl_add_u64 v[52:53], v[52:53], 2, s[2:3]
	s_mov_b64 s[0:1], 0
.LBB1_110:                              ;   Parent Loop BB1_64 Depth=1
                                        ;     Parent Loop BB1_101 Depth=2
                                        ; =>    This Inner Loop Header: Depth=3
	global_load_dword v55, v[52:53], off
	v_add_u32_e32 v1, -1, v1
	v_cmp_eq_u32_e32 vcc, 0, v1
	v_lshl_add_u64 v[52:53], v[52:53], 0, 4
	s_or_b64 s[0:1], vcc, s[0:1]
	s_waitcnt vmcnt(0)
	scratch_store_dword v54, v55, off
	v_add_u32_e32 v54, 4, v54
	s_andn2_b64 exec, exec, s[0:1]
	s_cbranch_execnz .LBB1_110
	s_branch .LBB1_100
.LBB1_111:                              ;   in Loop: Header=BB1_64 Depth=1
	s_mov_b32 s1, 0x10000
	s_mov_b32 s0, 0
.LBB1_112:                              ;   Parent Loop BB1_64 Depth=1
                                        ; =>  This Inner Loop Header: Depth=2
	s_and_b32 s16, s1, 0xffff
	s_lshr_b32 s17, s1, 16
	v_pk_add_u16 v1, s1, 2 op_sel_hi:[1,0]
	v_pk_add_u16 v52, s1, 4 op_sel_hi:[1,0]
	;; [unrolled: 1-line block ×5, first 2 shown]
	s_mul_i32 s16, s16, 0x8889
	s_mul_i32 s17, s17, 0x8889
	v_and_b32_e32 v61, 0xffff, v1
	v_and_b32_e32 v64, 0xffff, v52
	v_lshrrev_b32_e32 v63, 16, v1
	v_lshrrev_b32_e32 v72, 16, v52
	v_and_b32_e32 v75, 0xffff, v53
	v_and_b32_e32 v84, 0xffff, v54
	;; [unrolled: 1-line block ×3, first 2 shown]
	s_lshr_b32 s16, s16, 20
	s_lshr_b32 s17, s17, 20
	v_mul_lo_u32 v61, v61, s35
	v_mul_lo_u32 v64, v64, s35
	v_lshrrev_b32_e32 v83, 16, v53
	v_lshrrev_b32_e32 v85, 16, v54
	;; [unrolled: 1-line block ×3, first 2 shown]
	v_mul_lo_u32 v63, v63, s35
	v_mul_lo_u32 v72, v72, s35
	v_mul_lo_u32 v75, v75, s35
	v_mul_lo_u32 v84, v84, s35
	v_mul_lo_u32 v86, v86, s35
	s_pack_ll_b32_b16 s18, s16, s17
	v_lshrrev_b32_e32 v61, 20, v61
	v_lshrrev_b32_e32 v64, 20, v64
	v_mul_lo_u32 v83, v83, s35
	v_mul_lo_u32 v85, v85, s35
	;; [unrolled: 1-line block ×3, first 2 shown]
	v_lshrrev_b32_e32 v63, 20, v63
	v_lshrrev_b32_e32 v72, 20, v72
	;; [unrolled: 1-line block ×5, first 2 shown]
	v_pk_mul_lo_u16 v88, s18, 30 op_sel_hi:[1,0]
	v_and_b32_e32 v89, 0xffff, v61
	v_and_b32_e32 v90, 0xffff, v64
	v_lshrrev_b32_e32 v83, 20, v83
	v_lshrrev_b32_e32 v85, 20, v85
	;; [unrolled: 1-line block ×3, first 2 shown]
	v_and_b32_e32 v91, 0xffff, v75
	v_and_b32_e32 v92, 0xffff, v84
	;; [unrolled: 1-line block ×3, first 2 shown]
	v_pk_sub_i16 v88, s1, v88
	v_lshl_or_b32 v89, v63, 16, v89
	v_lshl_or_b32 v90, v72, 16, v90
	;; [unrolled: 1-line block ×5, first 2 shown]
	v_lshlrev_b32_sdwa v94, v80, v88 dst_sel:DWORD dst_unused:UNUSED_PAD src0_sel:DWORD src1_sel:WORD_0
	v_pk_mul_lo_u16 v89, v89, 30 op_sel_hi:[1,0]
	v_pk_mul_lo_u16 v90, v90, 30 op_sel_hi:[1,0]
	v_lshlrev_b32_sdwa v88, v80, v88 dst_sel:DWORD dst_unused:UNUSED_PAD src0_sel:DWORD src1_sel:WORD_1
	v_pk_mul_lo_u16 v91, v91, 30 op_sel_hi:[1,0]
	v_pk_mul_lo_u16 v92, v92, 30 op_sel_hi:[1,0]
	;; [unrolled: 1-line block ×3, first 2 shown]
	v_add_u32_e32 v94, 0x720, v94
	v_pk_sub_i16 v1, v1, v89
	v_pk_sub_i16 v52, v52, v90
	v_add_u32_e32 v88, 0x720, v88
	v_pk_sub_i16 v53, v53, v91
	v_pk_sub_i16 v54, v54, v92
	;; [unrolled: 1-line block ×3, first 2 shown]
	v_lshlrev_b32_sdwa v89, v80, v1 dst_sel:DWORD dst_unused:UNUSED_PAD src0_sel:DWORD src1_sel:WORD_0
	v_lshlrev_b32_sdwa v1, v80, v1 dst_sel:DWORD dst_unused:UNUSED_PAD src0_sel:DWORD src1_sel:WORD_1
	v_lshlrev_b32_sdwa v90, v80, v52 dst_sel:DWORD dst_unused:UNUSED_PAD src0_sel:DWORD src1_sel:WORD_0
	scratch_load_dword v95, v94, off
	scratch_load_dword v97, v88, off
	v_lshlrev_b32_sdwa v52, v80, v52 dst_sel:DWORD dst_unused:UNUSED_PAD src0_sel:DWORD src1_sel:WORD_1
	v_lshlrev_b32_sdwa v91, v80, v53 dst_sel:DWORD dst_unused:UNUSED_PAD src0_sel:DWORD src1_sel:WORD_0
	v_lshlrev_b32_sdwa v53, v80, v53 dst_sel:DWORD dst_unused:UNUSED_PAD src0_sel:DWORD src1_sel:WORD_1
	v_lshlrev_b32_sdwa v92, v80, v54 dst_sel:DWORD dst_unused:UNUSED_PAD src0_sel:DWORD src1_sel:WORD_0
	v_lshlrev_b32_sdwa v54, v80, v54 dst_sel:DWORD dst_unused:UNUSED_PAD src0_sel:DWORD src1_sel:WORD_1
	v_lshlrev_b32_sdwa v93, v80, v55 dst_sel:DWORD dst_unused:UNUSED_PAD src0_sel:DWORD src1_sel:WORD_0
	v_lshlrev_b32_sdwa v55, v80, v55 dst_sel:DWORD dst_unused:UNUSED_PAD src0_sel:DWORD src1_sel:WORD_1
	v_add_u32_e32 v88, 0x720, v89
	v_add_u32_e32 v1, 0x720, v1
	;; [unrolled: 1-line block ×10, first 2 shown]
	scratch_load_dword v93, v88, off
	s_nop 0
	scratch_load_dword v1, v1, off
	s_nop 0
	;; [unrolled: 2-line block ×3, first 2 shown]
	scratch_load_dword v99, v52, off
	scratch_load_dword v102, v90, off
	;; [unrolled: 1-line block ×7, first 2 shown]
	s_lshl_b32 s16, s16, 2
	s_lshl_b32 s17, s17, 2
	v_add_u32_e32 v52, s16, v59
	v_add_u32_e32 v54, s17, v59
	v_lshlrev_b32_e32 v53, 2, v61
	v_lshlrev_b32_e32 v55, 2, v63
	;; [unrolled: 1-line block ×10, first 2 shown]
	v_add_u32_e32 v64, 16, v53
	v_add_u32_e32 v72, 16, v55
	;; [unrolled: 1-line block ×10, first 2 shown]
	v_pk_add_u16 v61, s1, 12 op_sel_hi:[1,0]
	s_waitcnt vmcnt(11)
	v_mad_u64_u32 v[52:53], s[16:17], v95, 56, v[52:53]
	s_waitcnt vmcnt(10)
	v_mad_u64_u32 v[54:55], s[16:17], v97, 56, v[54:55]
	scratch_load_dword v52, v52, off
	s_nop 0
	scratch_load_dword v53, v54, off
	v_readfirstlane_b32 s1, v61
	s_waitcnt vmcnt(11)
	v_mad_u64_u32 v[54:55], s[16:17], v93, 56, v[64:65]
	s_waitcnt vmcnt(9)
	v_mad_u64_u32 v[84:85], s[16:17], v89, 56, v[84:85]
	;; [unrolled: 2-line block ×5, first 2 shown]
	v_mad_u64_u32 v[100:101], s[16:17], v1, 56, v[72:73]
	s_waitcnt vmcnt(5)
	v_mad_u64_u32 v[92:93], s[16:17], v104, 56, v[92:93]
	s_waitcnt vmcnt(4)
	;; [unrolled: 2-line block ×4, first 2 shown]
	v_mad_u64_u32 v[98:99], s[16:17], v107, 56, v[98:99]
	scratch_load_dword v54, v54, off
	s_nop 0
	scratch_load_dword v55, v100, off
	s_nop 0
	;; [unrolled: 2-line block ×4, first 2 shown]
	scratch_load_dword v86, v88, off
	scratch_load_dword v87, v90, off
	s_nop 0
	scratch_load_dword v88, v92, off
	scratch_load_dword v89, v94, off
	;; [unrolled: 1-line block ×4, first 2 shown]
	v_add_u32_e32 v1, s0, v71
	s_add_i32 s16, s0, 0x7a0
	s_add_i32 s0, s0, 48
	s_cmpk_eq_i32 s0, 0x630
	v_add_u32_e32 v63, 16, v1
	v_add_u32_e32 v1, 32, v1
	s_waitcnt vmcnt(8)
	scratch_store_dwordx4 off, v[52:55], s16
	s_waitcnt vmcnt(5)
	scratch_store_dwordx4 v63, v[84:87], off
	s_waitcnt vmcnt(2)
	scratch_store_dwordx4 v1, v[88:91], off
	s_cbranch_scc0 .LBB1_112
; %bb.113:                              ;   in Loop: Header=BB1_64 Depth=1
	scratch_load_dword v1, off, off offset:1848
	s_waitcnt vmcnt(0)
	v_mad_u64_u32 v[52:53], s[0:1], v1, 56, v[76:77]
	scratch_load_dword v61, v52, off
	scratch_load_dword v55, off, off offset:1952
	s_movk_i32 s0, 0xf9d0
	v_mov_b32_e32 v1, 0
	s_waitcnt vmcnt(1)
	scratch_store_dword off, v61, off offset:3536
.LBB1_114:                              ;   Parent Loop BB1_64 Depth=1
                                        ; =>  This Inner Loop Header: Depth=2
	v_readfirstlane_b32 s1, v71
	s_add_i32 s1, s1, s0
	s_add_i32 s16, s1, 0x634
	s_waitcnt vmcnt(1)
	v_mul_lo_u32 v63, v55, 26
	s_add_i32 s17, s1, 0x644
	s_addk_i32 s1, 0x654
	scratch_load_dwordx4 v[84:87], off, s16
	scratch_load_dwordx4 v[88:91], off, s17
	;; [unrolled: 1-line block ×3, first 2 shown]
	s_add_i32 s0, s0, 48
	s_cmp_lg_u32 s0, 0
	s_waitcnt vmcnt(2)
	v_add_lshl_u32 v63, v63, v84, 2
	v_mul_lo_u32 v64, v84, 26
	v_mul_lo_u32 v72, v85, 26
	;; [unrolled: 1-line block ×4, first 2 shown]
	s_waitcnt vmcnt(1)
	v_mul_lo_u32 v84, v88, 26
	v_mul_lo_u32 v92, v89, 26
	;; [unrolled: 1-line block ×4, first 2 shown]
	s_waitcnt vmcnt(0)
	v_mul_lo_u32 v95, v52, 26
	v_mul_lo_u32 v96, v53, 26
	;; [unrolled: 1-line block ×3, first 2 shown]
	v_add_lshl_u32 v64, v64, v85, 2
	v_add_lshl_u32 v72, v72, v86, 2
	;; [unrolled: 1-line block ×11, first 2 shown]
	ds_read_b32 v63, v63
	ds_read_b32 v64, v64
	;; [unrolled: 1-line block ×12, first 2 shown]
	s_waitcnt lgkmcnt(11)
	v_add_f32_e32 v1, v1, v63
	s_waitcnt lgkmcnt(10)
	v_add_f32_e32 v1, v1, v64
	;; [unrolled: 2-line block ×12, first 2 shown]
	s_cbranch_scc1 .LBB1_114
; %bb.115:                              ;   in Loop: Header=BB1_64 Depth=1
	v_cmp_nlt_f32_e32 vcc, v1, v82
	s_and_saveexec_b64 s[0:1], vcc
	s_xor_b64 s[0:1], exec, s[0:1]
	s_cbranch_execnz .LBB1_117
; %bb.116:                              ;   in Loop: Header=BB1_64 Depth=1
	s_andn2_saveexec_b64 s[0:1], s[0:1]
	s_cbranch_execz .LBB1_63
	s_branch .LBB1_118
.LBB1_117:                              ;   in Loop: Header=BB1_64 Depth=1
	v_mov_b32_e32 v61, v78
	v_mov_b32_e32 v62, v79
	scratch_store_dwordx3 off, v[60:62], off offset:1824
	scratch_store_dwordx4 off, v[4:7], off offset:1836
	scratch_store_dwordx4 off, v[8:11], off offset:1852
	;; [unrolled: 1-line block ×6, first 2 shown]
	scratch_store_dwordx3 off, v[56:58], off offset:1932
                                        ; implicit-def: $vgpr62
                                        ; implicit-def: $vgpr2_vgpr3
                                        ; implicit-def: $vgpr28_vgpr29
                                        ; implicit-def: $vgpr32_vgpr33
                                        ; implicit-def: $vgpr36_vgpr37
                                        ; implicit-def: $vgpr40_vgpr41
                                        ; implicit-def: $vgpr44_vgpr45
                                        ; implicit-def: $vgpr48_vgpr49
                                        ; implicit-def: $vgpr66_vgpr67
                                        ; implicit-def: $vgpr61
	s_andn2_saveexec_b64 s[0:1], s[0:1]
	s_cbranch_execz .LBB1_63
.LBB1_118:                              ;   in Loop: Header=BB1_64 Depth=1
	s_mov_b32 s16, 0
.LBB1_119:                              ;   Parent Loop BB1_64 Depth=1
                                        ; =>  This Inner Loop Header: Depth=2
	v_readfirstlane_b32 s17, v71
	s_add_i32 s18, s16, 0x7a0
	s_add_i32 s17, s17, s16
	scratch_load_dwordx4 v[4:7], off, s18
	s_add_i32 s18, s17, 16
	s_add_i32 s19, s17, 32
	;; [unrolled: 1-line block ×9, first 2 shown]
	s_addk_i32 s17, 0xa0
	scratch_load_dwordx4 v[8:11], off, s18
	scratch_load_dwordx4 v[12:15], off, s19
	;; [unrolled: 1-line block ×4, first 2 shown]
                                        ; kill: killed $sgpr20
                                        ; kill: killed $sgpr19
                                        ; kill: killed $sgpr18
                                        ; kill: killed $sgpr21
	scratch_load_dwordx4 v[24:27], off, s22
	scratch_load_dwordx4 v[52:55], off, s23
	;; [unrolled: 1-line block ×6, first 2 shown]
	v_readfirstlane_b32 s17, v77
	s_add_i32 s17, s17, s16
	s_add_i32 s18, s16, 0xde0
	s_addk_i32 s16, 0xb0
	s_add_i32 s19, s17, 16
	s_add_i32 s20, s17, 32
	s_add_i32 s21, s17, 48
	s_add_i32 s22, s17, 64
	s_add_i32 s23, s17, 0x50
	s_add_i32 s24, s17, 0x60
	s_add_i32 s25, s17, 0x70
	s_add_i32 s26, s17, 0x80
	s_add_i32 s27, s17, 0x90
	s_addk_i32 s17, 0xa0
	s_cmpk_eq_i32 s16, 0x630
	s_waitcnt vmcnt(10)
	scratch_store_dwordx4 off, v[4:7], s18
	s_waitcnt vmcnt(10)
	scratch_store_dwordx4 off, v[8:11], s19
	s_waitcnt vmcnt(10)
	scratch_store_dwordx4 off, v[12:15], s20
	s_waitcnt vmcnt(10)
	scratch_store_dwordx4 off, v[16:19], s21
	s_waitcnt vmcnt(10)
	scratch_store_dwordx4 off, v[20:23], s22
	s_waitcnt vmcnt(10)
	scratch_store_dwordx4 off, v[24:27], s23
	s_waitcnt vmcnt(10)
	scratch_store_dwordx4 off, v[52:55], s24
	s_waitcnt vmcnt(10)
	scratch_store_dwordx4 off, v[82:85], s25
	s_waitcnt vmcnt(10)
	scratch_store_dwordx4 off, v[86:89], s26
	s_waitcnt vmcnt(10)
	scratch_store_dwordx4 off, v[90:93], s27
	s_waitcnt vmcnt(10)
	scratch_store_dwordx4 off, v[94:97], s17
	s_cbranch_scc0 .LBB1_119
; %bb.120:                              ;   in Loop: Header=BB1_64 Depth=1
	v_mov_b64_e32 v[78:79], v[2:3]
	v_mov_b64_e32 v[4:5], v[28:29]
	;; [unrolled: 1-line block ×14, first 2 shown]
	v_mov_b32_e32 v82, v1
	v_mov_b32_e32 v60, v62
	;; [unrolled: 1-line block ×3, first 2 shown]
	scratch_store_dword off, v61, s28
	s_branch .LBB1_63
.LBB1_121:
	s_movk_i32 s0, 0x18d
	v_mul_lo_u32 v0, v70, s0
	v_ashrrev_i32_e32 v1, 31, v0
	v_lshl_add_u64 v[0:1], v[0:1], 2, s[8:9]
	s_mov_b64 s[0:1], 0x88
	v_lshl_add_u64 v[2:3], v[0:1], 0, s[0:1]
	s_mov_b32 s2, 0
	v_mov_b32_e32 v4, 0xde0
	s_mov_b64 s[0:1], 0x90
.LBB1_122:                              ; =>This Inner Loop Header: Depth=1
	v_readfirstlane_b32 s3, v4
	s_add_i32 s4, s2, 0xde0
	s_add_i32 s3, s3, s2
	scratch_load_dwordx4 v[6:9], off, s4
	s_add_i32 s4, s3, 16
	s_add_i32 s5, s3, 32
	;; [unrolled: 1-line block ×7, first 2 shown]
	s_addk_i32 s3, 0x80
	scratch_load_dwordx4 v[10:13], off, s4
	scratch_load_dwordx4 v[14:17], off, s5
	;; [unrolled: 1-line block ×8, first 2 shown]
	s_addk_i32 s2, 0x90
	s_cmpk_eq_i32 s2, 0x630
	s_waitcnt vmcnt(8)
	global_store_dwordx4 v[2:3], v[6:9], off offset:-136
	s_waitcnt vmcnt(8)
	global_store_dwordx4 v[2:3], v[10:13], off offset:-120
	;; [unrolled: 2-line block ×9, first 2 shown]
	v_lshl_add_u64 v[2:3], v[2:3], 0, s[0:1]
	s_cbranch_scc0 .LBB1_122
; %bb.123:
	scratch_load_dword v2, off, s28
	s_waitcnt vmcnt(0)
	global_store_dword v[0:1], v2, off offset:1584
	s_endpgm
	.section	.rodata,"a",@progbits
	.p2align	6, 0x0
	.amdhsa_kernel _Z6decodePKfPKiPKjPi
		.amdhsa_group_segment_fixed_size 2704
		.amdhsa_private_segment_fixed_size 5280
		.amdhsa_kernarg_size 288
		.amdhsa_user_sgpr_count 2
		.amdhsa_user_sgpr_dispatch_ptr 0
		.amdhsa_user_sgpr_queue_ptr 0
		.amdhsa_user_sgpr_kernarg_segment_ptr 1
		.amdhsa_user_sgpr_dispatch_id 0
		.amdhsa_user_sgpr_kernarg_preload_length 0
		.amdhsa_user_sgpr_kernarg_preload_offset 0
		.amdhsa_user_sgpr_private_segment_size 0
		.amdhsa_uses_dynamic_stack 0
		.amdhsa_enable_private_segment 1
		.amdhsa_system_sgpr_workgroup_id_x 1
		.amdhsa_system_sgpr_workgroup_id_y 0
		.amdhsa_system_sgpr_workgroup_id_z 0
		.amdhsa_system_sgpr_workgroup_info 0
		.amdhsa_system_vgpr_workitem_id 0
		.amdhsa_next_free_vgpr 108
		.amdhsa_next_free_sgpr 52
		.amdhsa_accum_offset 108
		.amdhsa_reserve_vcc 1
		.amdhsa_float_round_mode_32 0
		.amdhsa_float_round_mode_16_64 0
		.amdhsa_float_denorm_mode_32 3
		.amdhsa_float_denorm_mode_16_64 3
		.amdhsa_dx10_clamp 1
		.amdhsa_ieee_mode 1
		.amdhsa_fp16_overflow 0
		.amdhsa_tg_split 0
		.amdhsa_exception_fp_ieee_invalid_op 0
		.amdhsa_exception_fp_denorm_src 0
		.amdhsa_exception_fp_ieee_div_zero 0
		.amdhsa_exception_fp_ieee_overflow 0
		.amdhsa_exception_fp_ieee_underflow 0
		.amdhsa_exception_fp_ieee_inexact 0
		.amdhsa_exception_int_div_zero 0
	.end_amdhsa_kernel
	.text
.Lfunc_end1:
	.size	_Z6decodePKfPKiPKjPi, .Lfunc_end1-_Z6decodePKfPKiPKjPi
                                        ; -- End function
	.section	.AMDGPU.csdata,"",@progbits
; Kernel info:
; codeLenInByte = 15628
; NumSgprs: 58
; NumVgprs: 108
; NumAgprs: 0
; TotalNumVgprs: 108
; ScratchSize: 5280
; MemoryBound: 0
; FloatMode: 240
; IeeeMode: 1
; LDSByteSize: 2704 bytes/workgroup (compile time only)
; SGPRBlocks: 7
; VGPRBlocks: 13
; NumSGPRsForWavesPerEU: 58
; NumVGPRsForWavesPerEU: 108
; AccumOffset: 108
; Occupancy: 4
; WaveLimiterHint : 1
; COMPUTE_PGM_RSRC2:SCRATCH_EN: 1
; COMPUTE_PGM_RSRC2:USER_SGPR: 2
; COMPUTE_PGM_RSRC2:TRAP_HANDLER: 0
; COMPUTE_PGM_RSRC2:TGID_X_EN: 1
; COMPUTE_PGM_RSRC2:TGID_Y_EN: 0
; COMPUTE_PGM_RSRC2:TGID_Z_EN: 0
; COMPUTE_PGM_RSRC2:TIDIG_COMP_CNT: 0
; COMPUTE_PGM_RSRC3_GFX90A:ACCUM_OFFSET: 26
; COMPUTE_PGM_RSRC3_GFX90A:TG_SPLIT: 0
	.text
	.p2alignl 6, 3212836864
	.fill 256, 4, 3212836864
	.type	__hip_cuid_66c06f0012b2dd83,@object ; @__hip_cuid_66c06f0012b2dd83
	.section	.bss,"aw",@nobits
	.globl	__hip_cuid_66c06f0012b2dd83
__hip_cuid_66c06f0012b2dd83:
	.byte	0                               ; 0x0
	.size	__hip_cuid_66c06f0012b2dd83, 1

	.ident	"AMD clang version 19.0.0git (https://github.com/RadeonOpenCompute/llvm-project roc-6.4.0 25133 c7fe45cf4b819c5991fe208aaa96edf142730f1d)"
	.section	".note.GNU-stack","",@progbits
	.addrsig
	.addrsig_sym __hip_cuid_66c06f0012b2dd83
	.amdgpu_metadata
---
amdhsa.kernels:
  - .agpr_count:     0
    .args:
      - .address_space:  global
        .offset:         0
        .size:           8
        .value_kind:     global_buffer
      - .offset:         8
        .size:           4
        .value_kind:     hidden_block_count_x
      - .offset:         12
        .size:           4
        .value_kind:     hidden_block_count_y
      - .offset:         16
        .size:           4
        .value_kind:     hidden_block_count_z
      - .offset:         20
        .size:           2
        .value_kind:     hidden_group_size_x
      - .offset:         22
        .size:           2
        .value_kind:     hidden_group_size_y
      - .offset:         24
        .size:           2
        .value_kind:     hidden_group_size_z
      - .offset:         26
        .size:           2
        .value_kind:     hidden_remainder_x
      - .offset:         28
        .size:           2
        .value_kind:     hidden_remainder_y
      - .offset:         30
        .size:           2
        .value_kind:     hidden_remainder_z
      - .offset:         48
        .size:           8
        .value_kind:     hidden_global_offset_x
      - .offset:         56
        .size:           8
        .value_kind:     hidden_global_offset_y
      - .offset:         64
        .size:           8
        .value_kind:     hidden_global_offset_z
      - .offset:         72
        .size:           2
        .value_kind:     hidden_grid_dims
    .group_segment_fixed_size: 0
    .kernarg_segment_align: 8
    .kernarg_segment_size: 264
    .language:       OpenCL C
    .language_version:
      - 2
      - 0
    .max_flat_workgroup_size: 1024
    .name:           _Z11setupKernelPj
    .private_segment_fixed_size: 0
    .sgpr_count:     12
    .sgpr_spill_count: 0
    .symbol:         _Z11setupKernelPj.kd
    .uniform_work_group_size: 1
    .uses_dynamic_stack: false
    .vgpr_count:     6
    .vgpr_spill_count: 0
    .wavefront_size: 64
  - .agpr_count:     0
    .args:
      - .actual_access:  read_only
        .address_space:  global
        .offset:         0
        .size:           8
        .value_kind:     global_buffer
      - .actual_access:  read_only
        .address_space:  global
        .offset:         8
        .size:           8
        .value_kind:     global_buffer
      - .actual_access:  read_only
        .address_space:  global
        .offset:         16
        .size:           8
        .value_kind:     global_buffer
      - .actual_access:  write_only
        .address_space:  global
        .offset:         24
        .size:           8
        .value_kind:     global_buffer
      - .offset:         32
        .size:           4
        .value_kind:     hidden_block_count_x
      - .offset:         36
        .size:           4
        .value_kind:     hidden_block_count_y
      - .offset:         40
        .size:           4
        .value_kind:     hidden_block_count_z
      - .offset:         44
        .size:           2
        .value_kind:     hidden_group_size_x
      - .offset:         46
        .size:           2
        .value_kind:     hidden_group_size_y
      - .offset:         48
        .size:           2
        .value_kind:     hidden_group_size_z
      - .offset:         50
        .size:           2
        .value_kind:     hidden_remainder_x
      - .offset:         52
        .size:           2
        .value_kind:     hidden_remainder_y
      - .offset:         54
        .size:           2
        .value_kind:     hidden_remainder_z
      - .offset:         72
        .size:           8
        .value_kind:     hidden_global_offset_x
      - .offset:         80
        .size:           8
        .value_kind:     hidden_global_offset_y
      - .offset:         88
        .size:           8
        .value_kind:     hidden_global_offset_z
      - .offset:         96
        .size:           2
        .value_kind:     hidden_grid_dims
    .group_segment_fixed_size: 2704
    .kernarg_segment_align: 8
    .kernarg_segment_size: 288
    .language:       OpenCL C
    .language_version:
      - 2
      - 0
    .max_flat_workgroup_size: 1024
    .name:           _Z6decodePKfPKiPKjPi
    .private_segment_fixed_size: 5280
    .sgpr_count:     58
    .sgpr_spill_count: 0
    .symbol:         _Z6decodePKfPKiPKjPi.kd
    .uniform_work_group_size: 1
    .uses_dynamic_stack: false
    .vgpr_count:     108
    .vgpr_spill_count: 0
    .wavefront_size: 64
amdhsa.target:   amdgcn-amd-amdhsa--gfx942
amdhsa.version:
  - 1
  - 2
...

	.end_amdgpu_metadata
